;; amdgpu-corpus repo=ROCm/bitsandbytes kind=harvested arch=n/a opt=n/a
	.text
	.amdgcn_target "amdgcn-amd-amdhsa--gfx1100"
	.amdhsa_code_object_version 6
	.protected	_Z20kDequantizeBlockwiseI6__halfLi512ELi64ELi8ELi0EEvPfPhS1_PT_ii ; -- Begin function _Z20kDequantizeBlockwiseI6__halfLi512ELi64ELi8ELi0EEvPfPhS1_PT_ii
	.globl	_Z20kDequantizeBlockwiseI6__halfLi512ELi64ELi8ELi0EEvPfPhS1_PT_ii
	.p2align	8
	.type	_Z20kDequantizeBlockwiseI6__halfLi512ELi64ELi8ELi0EEvPfPhS1_PT_ii,@function
_Z20kDequantizeBlockwiseI6__halfLi512ELi64ELi8ELi0EEvPfPhS1_PT_ii: ; @_Z20kDequantizeBlockwiseI6__halfLi512ELi64ELi8ELi0EEvPfPhS1_PT_ii
; %bb.0:
	s_load_b32 s2, s[0:1], 0x28
	s_lshl_b32 s16, s15, 9
	s_waitcnt lgkmcnt(0)
	s_lshl_b32 s18, s2, 9
	s_delay_alu instid0(SALU_CYCLE_1)
	s_cmp_ge_i32 s16, s18
	s_cbranch_scc1 .LBB154_35
; %bb.1:
	v_lshlrev_b32_e32 v4, 3, v0
	v_mbcnt_lo_u32_b32 v1, -1, 0
	s_clause 0x1
	s_load_b256 s[8:15], s[0:1], 0x0
	s_load_b64 s[2:3], s[0:1], 0x20
	v_and_b32_e32 v2, 0x1f00, v4
	v_and_or_b32 v0, 0x3e0, v0, v1
	s_delay_alu instid0(VALU_DEP_2) | instskip(SKIP_1) | instid1(VALU_DEP_2)
	v_or_b32_e32 v5, v1, v2
	v_lshrrev_b32_e32 v3, 5, v2
	v_or_b32_e32 v7, 64, v5
	v_or_b32_e32 v6, 32, v5
	;; [unrolled: 1-line block ×3, first 2 shown]
	s_delay_alu instid0(VALU_DEP_4)
	v_add_nc_u32_e32 v13, v3, v5
	v_or_b32_e32 v8, 0x60, v5
	v_lshrrev_b32_e32 v27, 5, v7
	v_add_nc_u32_e32 v14, v3, v6
	v_or_b32_e32 v10, 0xa0, v5
	v_or_b32_e32 v11, 0xc0, v5
	v_lshrrev_b32_e32 v24, 5, v8
	v_and_b32_e32 v3, 0xf8, v27
	v_or_b32_e32 v12, 0xe0, v5
	v_lshrrev_b32_e32 v20, 5, v10
	s_waitcnt lgkmcnt(0)
	v_add_co_u32 v15, s1, s10, v1
	v_add_nc_u32_e32 v17, v3, v7
	v_lshrrev_b32_e32 v3, 5, v9
	v_and_b32_e32 v18, 0xf8, v24
	v_and_b32_e32 v28, 0xfa, v24
	v_lshrrev_b32_e32 v31, 5, v11
	v_lshrrev_b32_e32 v32, 5, v12
	v_add_nc_u32_e32 v19, v3, v9
	v_bfe_u32 v3, v0, 2, 27
	v_lshlrev_b32_e32 v0, 3, v0
	v_and_b32_e32 v20, 0xfc, v20
	v_add_co_ci_u32_e64 v16, null, s11, 0, s1
	s_delay_alu instid0(VALU_DEP_4) | instskip(SKIP_3) | instid1(VALU_DEP_4)
	v_and_b32_e32 v23, 0xfc, v3
	v_and_b32_e32 v3, 0xfe, v3
	v_add_co_u32 v15, vcc_lo, v15, v2
	v_lshlrev_b32_e32 v2, 1, v2
	v_add_nc_u32_e32 v23, v23, v0
	s_delay_alu instid0(VALU_DEP_4)
	v_add_lshl_u32 v24, v3, v0, 1
	v_lshlrev_b32_e32 v0, 1, v1
	v_and_b32_e32 v21, 0xfc, v31
	v_and_b32_e32 v22, 0xfc, v32
	v_add_nc_u32_e32 v20, v20, v10
	v_and_b32_e32 v1, 0xfe, v32
	v_add_co_u32 v0, s1, s14, v0
	s_delay_alu instid0(VALU_DEP_1) | instskip(SKIP_1) | instid1(VALU_DEP_3)
	v_add_co_ci_u32_e64 v3, null, s15, 0, s1
	v_add_co_ci_u32_e32 v16, vcc_lo, 0, v16, vcc_lo
	v_add_co_u32 v33, vcc_lo, v0, v2
	s_clz_i32_u32 s0, s2
	v_add_nc_u32_e32 v18, v18, v8
	v_add_nc_u32_e32 v21, v21, v11
	;; [unrolled: 1-line block ×3, first 2 shown]
	v_lshlrev_b32_e32 v25, 1, v13
	v_lshlrev_b32_e32 v26, 1, v14
	v_add_lshl_u32 v27, v27, v7, 1
	v_add_lshl_u32 v28, v28, v8, 1
	v_lshlrev_b32_e32 v29, 1, v19
	v_lshlrev_b32_e32 v30, 1, v20
	v_add_lshl_u32 v31, v31, v11, 1
	v_add_lshl_u32 v32, v1, v12, 1
	v_mov_b32_e32 v1, 0
	v_add_co_ci_u32_e32 v34, vcc_lo, 0, v3, vcc_lo
	s_min_u32 s0, s0, 32
	s_sub_i32 s11, s3, s16
	s_sub_i32 s10, 31, s0
	s_branch .LBB154_3
.LBB154_2:                              ;   in Loop: Header=BB154_3 Depth=1
	s_or_b32 exec_lo, exec_lo, s0
	s_add_i32 s16, s16, s18
	s_sub_i32 s11, s11, s18
	s_cmp_ge_i32 s16, s18
	s_cbranch_scc1 .LBB154_35
.LBB154_3:                              ; =>This Inner Loop Header: Depth=1
	s_waitcnt lgkmcnt(0)
	v_dual_mov_b32 v35, 0x80 :: v_dual_add_nc_u32 v0, s16, v4
	s_ashr_i32 s17, s16, 31
	s_min_i32 s6, s11, 0x200
	v_dual_mov_b32 v36, 0x80 :: v_dual_mov_b32 v37, 0x80
	s_delay_alu instid0(VALU_DEP_2) | instskip(SKIP_2) | instid1(VALU_DEP_3)
	v_lshrrev_b32_e32 v0, s10, v0
	v_dual_mov_b32 v38, 0x80 :: v_dual_mov_b32 v39, 0x80
	v_dual_mov_b32 v40, 0x80 :: v_dual_mov_b32 v41, 0x80
	v_lshlrev_b64 v[2:3], 2, v[0:1]
	s_delay_alu instid0(VALU_DEP_1) | instskip(NEXT) | instid1(VALU_DEP_2)
	v_add_co_u32 v2, vcc_lo, s12, v2
	v_add_co_ci_u32_e32 v3, vcc_lo, s13, v3, vcc_lo
	global_load_b32 v0, v[2:3], off
	v_add_co_u32 v2, vcc_lo, v15, s16
	v_add_co_ci_u32_e32 v3, vcc_lo, s17, v16, vcc_lo
	v_cmp_gt_u32_e32 vcc_lo, s6, v5
	s_waitcnt vmcnt(0)
	s_waitcnt_vscnt null, 0x0
	s_barrier
	buffer_gl0_inv
	s_and_saveexec_b32 s0, vcc_lo
	s_cbranch_execz .LBB154_5
; %bb.4:                                ;   in Loop: Header=BB154_3 Depth=1
	global_load_u8 v36, v[2:3], off
	v_dual_mov_b32 v35, 0x80 :: v_dual_mov_b32 v38, 0x80
	v_dual_mov_b32 v37, 0x80 :: v_dual_mov_b32 v40, 0x80
	v_mov_b32_e32 v39, 0x80
	v_mov_b32_e32 v41, 0x80
.LBB154_5:                              ;   in Loop: Header=BB154_3 Depth=1
	s_or_b32 exec_lo, exec_lo, s0
	v_cmp_gt_u32_e64 s0, s6, v6
	v_mov_b32_e32 v42, v35
	s_delay_alu instid0(VALU_DEP_2)
	s_and_saveexec_b32 s1, s0
	s_cbranch_execnz .LBB154_21
; %bb.6:                                ;   in Loop: Header=BB154_3 Depth=1
	s_or_b32 exec_lo, exec_lo, s1
	v_cmp_gt_u32_e64 s1, s6, v7
	s_delay_alu instid0(VALU_DEP_1)
	s_and_saveexec_b32 s2, s1
	s_cbranch_execnz .LBB154_22
.LBB154_7:                              ;   in Loop: Header=BB154_3 Depth=1
	s_or_b32 exec_lo, exec_lo, s2
	v_cmp_gt_u32_e64 s2, s6, v8
	s_delay_alu instid0(VALU_DEP_1)
	s_and_saveexec_b32 s3, s2
	s_cbranch_execnz .LBB154_23
.LBB154_8:                              ;   in Loop: Header=BB154_3 Depth=1
	s_or_b32 exec_lo, exec_lo, s3
	v_cmp_gt_u32_e64 s3, s6, v9
	s_delay_alu instid0(VALU_DEP_1)
	s_and_saveexec_b32 s4, s3
	s_cbranch_execnz .LBB154_24
.LBB154_9:                              ;   in Loop: Header=BB154_3 Depth=1
	s_or_b32 exec_lo, exec_lo, s4
	v_cmp_gt_u32_e64 s4, s6, v10
	s_delay_alu instid0(VALU_DEP_1)
	s_and_saveexec_b32 s5, s4
	s_cbranch_execnz .LBB154_25
.LBB154_10:                             ;   in Loop: Header=BB154_3 Depth=1
	s_or_b32 exec_lo, exec_lo, s5
	v_cmp_gt_u32_e64 s5, s6, v11
	s_delay_alu instid0(VALU_DEP_1)
	s_and_saveexec_b32 s7, s5
	s_cbranch_execnz .LBB154_26
.LBB154_11:                             ;   in Loop: Header=BB154_3 Depth=1
	s_or_b32 exec_lo, exec_lo, s7
	v_cmp_gt_u32_e64 s6, s6, v12
	s_delay_alu instid0(VALU_DEP_1)
	s_and_saveexec_b32 s7, s6
	s_cbranch_execz .LBB154_13
.LBB154_12:                             ;   in Loop: Header=BB154_3 Depth=1
	global_load_u8 v41, v[2:3], off offset:224
.LBB154_13:                             ;   in Loop: Header=BB154_3 Depth=1
	s_or_b32 exec_lo, exec_lo, s7
	s_waitcnt vmcnt(0)
	ds_store_b8 v13, v36 offset:1056
	ds_store_b8 v14, v42 offset:1056
	;; [unrolled: 1-line block ×8, first 2 shown]
	; wave barrier
	ds_load_b64 v[2:3], v23 offset:1056
	s_lshl_b64 s[14:15], s[16:17], 1
	s_waitcnt lgkmcnt(0)
	v_lshrrev_b32_e32 v40, 14, v3
	v_and_b32_e32 v38, 0xff, v3
	v_lshrrev_b32_e32 v37, 14, v2
	v_and_b32_e32 v35, 0xff, v2
	v_lshrrev_b32_e32 v36, 6, v2
	v_lshrrev_b32_e32 v2, 22, v2
	;; [unrolled: 1-line block ×4, first 2 shown]
	v_and_b32_e32 v40, 0x3fc, v40
	v_lshlrev_b32_e32 v38, 2, v38
	v_and_b32_e32 v37, 0x3fc, v37
	v_lshlrev_b32_e32 v35, 2, v35
	v_and_b32_e32 v2, 0x3fc, v2
	v_and_b32_e32 v39, 0x3fc, v39
	;; [unrolled: 1-line block ×4, first 2 shown]
	s_clause 0x7
	global_load_b32 v40, v40, s[8:9]
	global_load_b32 v41, v38, s[8:9]
	;; [unrolled: 1-line block ×8, first 2 shown]
	s_waitcnt vmcnt(0)
	s_barrier
	buffer_gl0_inv
	v_fma_mixlo_f16 v38, v0, v40, 0
	v_fma_mixlo_f16 v37, v0, v41, 0
	;; [unrolled: 1-line block ×4, first 2 shown]
	s_delay_alu instid0(VALU_DEP_4) | instskip(NEXT) | instid1(VALU_DEP_4)
	v_fma_mixhi_f16 v38, v0, v3, 0
	v_fma_mixhi_f16 v37, v0, v39, 0
	s_delay_alu instid0(VALU_DEP_4) | instskip(NEXT) | instid1(VALU_DEP_4)
	v_fma_mixhi_f16 v36, v0, v2, 0
	v_fma_mixhi_f16 v35, v0, v43, 0
	v_add_co_u32 v2, s7, v33, s14
	s_delay_alu instid0(VALU_DEP_1)
	v_add_co_ci_u32_e64 v3, s7, s15, v34, s7
	ds_store_b128 v24, v[35:38]
	; wave barrier
	ds_load_u16 v40, v26
	ds_load_u16 v39, v27
	;; [unrolled: 1-line block ×7, first 2 shown]
	s_and_saveexec_b32 s7, vcc_lo
	s_cbranch_execnz .LBB154_27
; %bb.14:                               ;   in Loop: Header=BB154_3 Depth=1
	s_or_b32 exec_lo, exec_lo, s7
	s_and_saveexec_b32 s7, s0
	s_cbranch_execnz .LBB154_28
.LBB154_15:                             ;   in Loop: Header=BB154_3 Depth=1
	s_or_b32 exec_lo, exec_lo, s7
	s_and_saveexec_b32 s0, s1
	s_cbranch_execnz .LBB154_29
.LBB154_16:                             ;   in Loop: Header=BB154_3 Depth=1
	s_or_b32 exec_lo, exec_lo, s0
	s_and_saveexec_b32 s0, s2
	s_cbranch_execnz .LBB154_30
.LBB154_17:                             ;   in Loop: Header=BB154_3 Depth=1
	s_or_b32 exec_lo, exec_lo, s0
	s_and_saveexec_b32 s0, s3
	s_cbranch_execnz .LBB154_31
.LBB154_18:                             ;   in Loop: Header=BB154_3 Depth=1
	s_or_b32 exec_lo, exec_lo, s0
	s_and_saveexec_b32 s0, s4
	s_cbranch_execnz .LBB154_32
.LBB154_19:                             ;   in Loop: Header=BB154_3 Depth=1
	s_or_b32 exec_lo, exec_lo, s0
	s_and_saveexec_b32 s0, s5
	s_cbranch_execnz .LBB154_33
.LBB154_20:                             ;   in Loop: Header=BB154_3 Depth=1
	s_or_b32 exec_lo, exec_lo, s0
	s_and_saveexec_b32 s0, s6
	s_cbranch_execz .LBB154_2
	s_branch .LBB154_34
.LBB154_21:                             ;   in Loop: Header=BB154_3 Depth=1
	global_load_u8 v42, v[2:3], off offset:32
	s_or_b32 exec_lo, exec_lo, s1
	v_cmp_gt_u32_e64 s1, s6, v7
	s_delay_alu instid0(VALU_DEP_1)
	s_and_saveexec_b32 s2, s1
	s_cbranch_execz .LBB154_7
.LBB154_22:                             ;   in Loop: Header=BB154_3 Depth=1
	global_load_u8 v35, v[2:3], off offset:64
	s_or_b32 exec_lo, exec_lo, s2
	v_cmp_gt_u32_e64 s2, s6, v8
	s_delay_alu instid0(VALU_DEP_1)
	s_and_saveexec_b32 s3, s2
	s_cbranch_execz .LBB154_8
.LBB154_23:                             ;   in Loop: Header=BB154_3 Depth=1
	global_load_u8 v37, v[2:3], off offset:96
	s_or_b32 exec_lo, exec_lo, s3
	v_cmp_gt_u32_e64 s3, s6, v9
	s_delay_alu instid0(VALU_DEP_1)
	s_and_saveexec_b32 s4, s3
	s_cbranch_execz .LBB154_9
.LBB154_24:                             ;   in Loop: Header=BB154_3 Depth=1
	global_load_u8 v38, v[2:3], off offset:128
	s_or_b32 exec_lo, exec_lo, s4
	v_cmp_gt_u32_e64 s4, s6, v10
	s_delay_alu instid0(VALU_DEP_1)
	s_and_saveexec_b32 s5, s4
	s_cbranch_execz .LBB154_10
.LBB154_25:                             ;   in Loop: Header=BB154_3 Depth=1
	global_load_u8 v39, v[2:3], off offset:160
	s_or_b32 exec_lo, exec_lo, s5
	v_cmp_gt_u32_e64 s5, s6, v11
	s_delay_alu instid0(VALU_DEP_1)
	s_and_saveexec_b32 s7, s5
	s_cbranch_execz .LBB154_11
.LBB154_26:                             ;   in Loop: Header=BB154_3 Depth=1
	global_load_u8 v40, v[2:3], off offset:192
	s_or_b32 exec_lo, exec_lo, s7
	v_cmp_gt_u32_e64 s6, s6, v12
	s_delay_alu instid0(VALU_DEP_1)
	s_and_saveexec_b32 s7, s6
	s_cbranch_execnz .LBB154_12
	s_branch .LBB154_13
.LBB154_27:                             ;   in Loop: Header=BB154_3 Depth=1
	ds_load_u16 v41, v25
	s_waitcnt lgkmcnt(0)
	global_store_b16 v[2:3], v41, off
	s_or_b32 exec_lo, exec_lo, s7
	s_and_saveexec_b32 s7, s0
	s_cbranch_execz .LBB154_15
.LBB154_28:                             ;   in Loop: Header=BB154_3 Depth=1
	s_waitcnt lgkmcnt(6)
	global_store_b16 v[2:3], v40, off offset:64
	s_or_b32 exec_lo, exec_lo, s7
	s_and_saveexec_b32 s0, s1
	s_cbranch_execz .LBB154_16
.LBB154_29:                             ;   in Loop: Header=BB154_3 Depth=1
	s_waitcnt lgkmcnt(5)
	global_store_b16 v[2:3], v39, off offset:128
	s_or_b32 exec_lo, exec_lo, s0
	s_and_saveexec_b32 s0, s2
	s_cbranch_execz .LBB154_17
.LBB154_30:                             ;   in Loop: Header=BB154_3 Depth=1
	s_waitcnt lgkmcnt(4)
	global_store_b16 v[2:3], v38, off offset:192
	s_or_b32 exec_lo, exec_lo, s0
	s_and_saveexec_b32 s0, s3
	s_cbranch_execz .LBB154_18
.LBB154_31:                             ;   in Loop: Header=BB154_3 Depth=1
	s_waitcnt lgkmcnt(3)
	global_store_b16 v[2:3], v37, off offset:256
	s_or_b32 exec_lo, exec_lo, s0
	s_and_saveexec_b32 s0, s4
	s_cbranch_execz .LBB154_19
.LBB154_32:                             ;   in Loop: Header=BB154_3 Depth=1
	s_waitcnt lgkmcnt(2)
	global_store_b16 v[2:3], v36, off offset:320
	s_or_b32 exec_lo, exec_lo, s0
	s_and_saveexec_b32 s0, s5
	s_cbranch_execz .LBB154_20
.LBB154_33:                             ;   in Loop: Header=BB154_3 Depth=1
	s_waitcnt lgkmcnt(1)
	global_store_b16 v[2:3], v35, off offset:384
	s_or_b32 exec_lo, exec_lo, s0
	s_and_saveexec_b32 s0, s6
	s_cbranch_execz .LBB154_2
.LBB154_34:                             ;   in Loop: Header=BB154_3 Depth=1
	s_waitcnt lgkmcnt(0)
	global_store_b16 v[2:3], v0, off offset:448
	s_branch .LBB154_2
.LBB154_35:
	s_nop 0
	s_sendmsg sendmsg(MSG_DEALLOC_VGPRS)
	s_endpgm
	.section	.rodata,"a",@progbits
	.p2align	6, 0x0
	.amdhsa_kernel _Z20kDequantizeBlockwiseI6__halfLi512ELi64ELi8ELi0EEvPfPhS1_PT_ii
		.amdhsa_group_segment_fixed_size 1584
		.amdhsa_private_segment_fixed_size 0
		.amdhsa_kernarg_size 296
		.amdhsa_user_sgpr_count 15
		.amdhsa_user_sgpr_dispatch_ptr 0
		.amdhsa_user_sgpr_queue_ptr 0
		.amdhsa_user_sgpr_kernarg_segment_ptr 1
		.amdhsa_user_sgpr_dispatch_id 0
		.amdhsa_user_sgpr_private_segment_size 0
		.amdhsa_wavefront_size32 1
		.amdhsa_uses_dynamic_stack 0
		.amdhsa_enable_private_segment 0
		.amdhsa_system_sgpr_workgroup_id_x 1
		.amdhsa_system_sgpr_workgroup_id_y 0
		.amdhsa_system_sgpr_workgroup_id_z 0
		.amdhsa_system_sgpr_workgroup_info 0
		.amdhsa_system_vgpr_workitem_id 0
		.amdhsa_next_free_vgpr 44
		.amdhsa_next_free_sgpr 19
		.amdhsa_reserve_vcc 1
		.amdhsa_float_round_mode_32 0
		.amdhsa_float_round_mode_16_64 0
		.amdhsa_float_denorm_mode_32 3
		.amdhsa_float_denorm_mode_16_64 3
		.amdhsa_dx10_clamp 1
		.amdhsa_ieee_mode 1
		.amdhsa_fp16_overflow 0
		.amdhsa_workgroup_processor_mode 1
		.amdhsa_memory_ordered 1
		.amdhsa_forward_progress 0
		.amdhsa_shared_vgpr_count 0
		.amdhsa_exception_fp_ieee_invalid_op 0
		.amdhsa_exception_fp_denorm_src 0
		.amdhsa_exception_fp_ieee_div_zero 0
		.amdhsa_exception_fp_ieee_overflow 0
		.amdhsa_exception_fp_ieee_underflow 0
		.amdhsa_exception_fp_ieee_inexact 0
		.amdhsa_exception_int_div_zero 0
	.end_amdhsa_kernel
	.section	.text._Z20kDequantizeBlockwiseI6__halfLi512ELi64ELi8ELi0EEvPfPhS1_PT_ii,"axG",@progbits,_Z20kDequantizeBlockwiseI6__halfLi512ELi64ELi8ELi0EEvPfPhS1_PT_ii,comdat
.Lfunc_end154:
	.size	_Z20kDequantizeBlockwiseI6__halfLi512ELi64ELi8ELi0EEvPfPhS1_PT_ii, .Lfunc_end154-_Z20kDequantizeBlockwiseI6__halfLi512ELi64ELi8ELi0EEvPfPhS1_PT_ii
                                        ; -- End function
	.section	.AMDGPU.csdata,"",@progbits
; Kernel info:
; codeLenInByte = 1768
; NumSgprs: 21
; NumVgprs: 44
; ScratchSize: 0
; MemoryBound: 0
; FloatMode: 240
; IeeeMode: 1
; LDSByteSize: 1584 bytes/workgroup (compile time only)
; SGPRBlocks: 2
; VGPRBlocks: 5
; NumSGPRsForWavesPerEU: 21
; NumVGPRsForWavesPerEU: 44
; Occupancy: 16
; WaveLimiterHint : 0
; COMPUTE_PGM_RSRC2:SCRATCH_EN: 0
; COMPUTE_PGM_RSRC2:USER_SGPR: 15
; COMPUTE_PGM_RSRC2:TRAP_HANDLER: 0
; COMPUTE_PGM_RSRC2:TGID_X_EN: 1
; COMPUTE_PGM_RSRC2:TGID_Y_EN: 0
; COMPUTE_PGM_RSRC2:TGID_Z_EN: 0
; COMPUTE_PGM_RSRC2:TIDIG_COMP_CNT: 0
	.section	.text._Z20kDequantizeBlockwiseI6__halfLi512ELi64ELi8ELi2EEvPfPhS1_PT_ii,"axG",@progbits,_Z20kDequantizeBlockwiseI6__halfLi512ELi64ELi8ELi2EEvPfPhS1_PT_ii,comdat
